;; amdgpu-corpus repo=ROCm/rocFFT kind=compiled arch=gfx906 opt=O3
	.text
	.amdgcn_target "amdgcn-amd-amdhsa--gfx906"
	.amdhsa_code_object_version 6
	.protected	bluestein_single_back_len81_dim1_sp_op_CI_CI ; -- Begin function bluestein_single_back_len81_dim1_sp_op_CI_CI
	.globl	bluestein_single_back_len81_dim1_sp_op_CI_CI
	.p2align	8
	.type	bluestein_single_back_len81_dim1_sp_op_CI_CI,@function
bluestein_single_back_len81_dim1_sp_op_CI_CI: ; @bluestein_single_back_len81_dim1_sp_op_CI_CI
; %bb.0:
	s_load_dwordx4 s[12:15], s[4:5], 0x28
	v_mul_u32_u24_e32 v1, 0x97c, v0
	v_lshrrev_b32_e32 v1, 16, v1
	v_lshl_add_u32 v14, s6, 2, v1
	v_mov_b32_e32 v15, 0
	s_waitcnt lgkmcnt(0)
	v_cmp_gt_u64_e32 vcc, s[12:13], v[14:15]
	s_and_saveexec_b64 s[0:1], vcc
	s_cbranch_execz .LBB0_2
; %bb.1:
	s_load_dwordx4 s[0:3], s[4:5], 0x18
	s_load_dwordx4 s[8:11], s[4:5], 0x0
	v_mul_lo_u16_e32 v2, 27, v1
	v_sub_u16_e32 v16, v0, v2
	v_mov_b32_e32 v15, 0xd8
	s_waitcnt lgkmcnt(0)
	s_load_dwordx4 s[16:19], s[0:1], 0x0
	v_lshlrev_b32_e32 v20, 3, v16
	s_waitcnt lgkmcnt(0)
	v_mad_u64_u32 v[2:3], s[0:1], s18, v14, 0
	v_mad_u64_u32 v[4:5], s[0:1], s16, v16, 0
	v_mov_b32_e32 v0, v3
	s_mul_i32 s6, s17, 0xd8
	v_mov_b32_e32 v3, v5
	v_mad_u64_u32 v[5:6], s[0:1], s19, v14, v[0:1]
	v_mad_u64_u32 v[6:7], s[0:1], s17, v16, v[3:4]
	v_mov_b32_e32 v3, v5
	v_lshlrev_b64 v[2:3], 3, v[2:3]
	v_mov_b32_e32 v5, v6
	v_mov_b32_e32 v0, s15
	v_lshlrev_b64 v[4:5], 3, v[4:5]
	v_add_co_u32_e32 v2, vcc, s14, v2
	v_addc_co_u32_e32 v0, vcc, v0, v3, vcc
	v_add_co_u32_e32 v2, vcc, v2, v4
	v_addc_co_u32_e32 v3, vcc, v0, v5, vcc
	v_mad_u64_u32 v[4:5], s[0:1], s16, v15, v[2:3]
	global_load_dwordx2 v[2:3], v[2:3], off
	v_and_b32_e32 v0, 3, v1
	v_add_u32_e32 v5, s6, v5
	global_load_dwordx2 v[8:9], v20, s[8:9]
	global_load_dwordx2 v[6:7], v[4:5], off
	v_mad_u64_u32 v[4:5], s[0:1], s16, v15, v[4:5]
	global_load_dwordx2 v[10:11], v20, s[8:9] offset:216
	s_movk_i32 s0, 0xab
	v_add_u32_e32 v5, s6, v5
	global_load_dwordx2 v[12:13], v20, s[8:9] offset:432
	global_load_dwordx2 v[18:19], v[4:5], off
	v_mul_u32_u24_e32 v0, 0x51, v0
	v_mul_lo_u16_sdwa v1, v16, s0 dst_sel:DWORD dst_unused:UNUSED_PAD src0_sel:BYTE_0 src1_sel:DWORD
	v_lshlrev_b32_e32 v25, 3, v0
	v_mul_lo_u16_e32 v0, 3, v16
	v_lshrrev_b16_e32 v26, 9, v1
	v_lshl_add_u32 v35, v0, 3, v25
	v_mul_lo_u16_e32 v0, 3, v26
	v_sub_u16_e32 v27, v16, v0
	v_lshlrev_b16_e32 v0, 1, v27
	v_and_b32_e32 v21, 0xfe, v0
	v_add_u32_e32 v17, v25, v20
	s_load_dwordx4 s[0:3], s[2:3], 0x0
	s_add_u32 s6, s8, 0x288
	s_addc_u32 s7, s9, 0
	s_waitcnt vmcnt(4)
	v_mul_f32_e32 v1, v2, v9
	v_mul_f32_e32 v0, v3, v9
	v_fma_f32 v1, v3, v8, -v1
	v_fmac_f32_e32 v0, v2, v8
	s_waitcnt vmcnt(2)
	v_mul_f32_e32 v3, v6, v11
	v_mul_f32_e32 v2, v7, v11
	v_fma_f32 v3, v7, v10, -v3
	v_fmac_f32_e32 v2, v6, v10
	ds_write2_b64 v17, v[0:1], v[2:3] offset1:27
	s_waitcnt vmcnt(0)
	v_mul_f32_e32 v0, v19, v13
	v_mul_f32_e32 v1, v18, v13
	v_fmac_f32_e32 v0, v18, v12
	v_fma_f32 v1, v19, v12, -v1
	ds_write_b64 v17, v[0:1] offset:432
	s_waitcnt lgkmcnt(0)
	s_barrier
	ds_read2_b64 v[0:3], v17 offset1:27
	ds_read_b64 v[4:5], v17 offset:432
	v_lshlrev_b32_e32 v6, 3, v21
	s_waitcnt lgkmcnt(0)
	s_barrier
	v_add_f32_e32 v19, v0, v2
	v_add_f32_e32 v7, v2, v4
	;; [unrolled: 1-line block ×3, first 2 shown]
	v_sub_f32_e32 v21, v3, v5
	v_add_f32_e32 v3, v1, v3
	v_fma_f32 v0, -0.5, v7, v0
	v_fma_f32 v1, -0.5, v18, v1
	v_sub_f32_e32 v22, v2, v4
	v_add_f32_e32 v2, v19, v4
	v_add_f32_e32 v3, v3, v5
	v_mov_b32_e32 v4, v0
	v_mov_b32_e32 v5, v1
	v_fmac_f32_e32 v0, 0xbf5db3d7, v21
	v_fmac_f32_e32 v1, 0x3f5db3d7, v22
	;; [unrolled: 1-line block ×4, first 2 shown]
	ds_write_b64 v35, v[0:1] offset:16
	ds_write2_b64 v35, v[2:3], v[4:5] offset1:1
	s_waitcnt lgkmcnt(0)
	s_barrier
	global_load_dwordx4 v[21:24], v6, s[10:11]
	ds_read_b64 v[4:5], v17 offset:432
	ds_read2_b64 v[0:3], v17 offset1:27
	v_mov_b32_e32 v6, 57
	v_mul_lo_u16_sdwa v6, v16, v6 dst_sel:DWORD dst_unused:UNUSED_PAD src0_sel:BYTE_0 src1_sel:DWORD
	v_lshrrev_b16_e32 v19, 9, v6
	s_waitcnt vmcnt(0) lgkmcnt(0)
	s_barrier
	v_mul_f32_e32 v6, v5, v24
	v_mul_f32_e32 v7, v4, v24
	;; [unrolled: 1-line block ×3, first 2 shown]
	v_fma_f32 v4, v4, v23, -v6
	v_fmac_f32_e32 v7, v5, v23
	v_fma_f32 v5, v2, v21, -v18
	v_mul_f32_e32 v28, v2, v22
	v_add_f32_e32 v2, v5, v4
	v_fma_f32 v2, -0.5, v2, v0
	v_add_f32_e32 v6, v0, v5
	v_mul_lo_u16_e32 v0, 9, v19
	v_sub_u16_e32 v30, v16, v0
	v_fmac_f32_e32 v28, v3, v21
	v_mad_legacy_u16 v0, v26, 9, v27
	v_lshlrev_b16_e32 v18, 4, v30
	v_add_f32_e32 v3, v28, v7
	v_and_b32_e32 v0, 0xff, v0
	v_and_b32_e32 v26, 0xf0, v18
	v_fma_f32 v3, -0.5, v3, v1
	v_add_f32_e32 v29, v1, v28
	v_mov_b32_e32 v1, s11
	v_lshl_add_u32 v18, v0, 3, v25
	v_add_co_u32_e32 v0, vcc, s10, v26
	v_sub_f32_e32 v26, v28, v7
	v_sub_f32_e32 v27, v5, v4
	v_addc_co_u32_e32 v1, vcc, 0, v1, vcc
	v_add_f32_e32 v5, v29, v7
	v_add_f32_e32 v4, v6, v4
	v_mov_b32_e32 v6, v2
	v_mov_b32_e32 v7, v3
	v_fmac_f32_e32 v2, 0xbf5db3d7, v26
	v_fmac_f32_e32 v3, 0x3f5db3d7, v27
	;; [unrolled: 1-line block ×4, first 2 shown]
	ds_write_b64 v18, v[2:3] offset:48
	ds_write2_b64 v18, v[4:5], v[6:7] offset1:3
	s_waitcnt lgkmcnt(0)
	s_barrier
	global_load_dwordx4 v[0:3], v[0:1], off offset:48
	ds_read_b64 v[4:5], v17 offset:432
	v_mad_legacy_u16 v19, v19, 27, v30
	v_and_b32_e32 v19, 0xff, v19
	v_lshl_add_u32 v19, v19, 3, v25
	v_lshlrev_b32_e32 v30, 4, v16
	s_waitcnt vmcnt(0) lgkmcnt(0)
	v_mul_f32_e32 v6, v5, v3
	v_mul_f32_e32 v26, v4, v3
	v_fma_f32 v27, v4, v2, -v6
	v_fmac_f32_e32 v26, v5, v2
	ds_read2_b64 v[4:7], v17 offset1:27
	s_waitcnt lgkmcnt(0)
	s_barrier
	v_mul_f32_e32 v28, v7, v1
	v_mul_f32_e32 v29, v6, v1
	v_fma_f32 v28, v6, v0, -v28
	v_fmac_f32_e32 v29, v7, v0
	v_add_f32_e32 v6, v28, v27
	v_add_f32_e32 v7, v29, v26
	v_fma_f32 v6, -0.5, v6, v4
	v_fma_f32 v7, -0.5, v7, v5
	v_add_f32_e32 v4, v4, v28
	v_add_f32_e32 v5, v5, v29
	v_sub_f32_e32 v29, v29, v26
	v_sub_f32_e32 v28, v28, v27
	v_add_f32_e32 v5, v5, v26
	v_add_f32_e32 v4, v4, v27
	v_mov_b32_e32 v25, v6
	v_mov_b32_e32 v26, v7
	v_fmac_f32_e32 v6, 0xbf5db3d7, v29
	v_fmac_f32_e32 v7, 0x3f5db3d7, v28
	;; [unrolled: 1-line block ×4, first 2 shown]
	ds_write_b64 v19, v[6:7] offset:144
	ds_write2_b64 v19, v[4:5], v[25:26] offset1:9
	s_waitcnt lgkmcnt(0)
	s_barrier
	global_load_dwordx4 v[4:7], v30, s[10:11] offset:192
	ds_read_b64 v[25:26], v17 offset:432
	s_waitcnt vmcnt(0) lgkmcnt(0)
	v_mul_f32_e32 v27, v26, v7
	v_mul_f32_e32 v29, v25, v7
	v_fma_f32 v30, v25, v6, -v27
	v_fmac_f32_e32 v29, v26, v6
	ds_read2_b64 v[25:28], v17 offset1:27
	s_waitcnt lgkmcnt(0)
	v_mul_f32_e32 v31, v28, v5
	v_mul_f32_e32 v32, v27, v5
	v_fma_f32 v31, v27, v4, -v31
	v_fmac_f32_e32 v32, v28, v4
	v_add_f32_e32 v27, v31, v30
	v_add_f32_e32 v28, v32, v29
	v_fma_f32 v27, -0.5, v27, v25
	v_fma_f32 v28, -0.5, v28, v26
	v_add_f32_e32 v25, v25, v31
	v_add_f32_e32 v26, v26, v32
	v_sub_f32_e32 v32, v32, v29
	v_add_f32_e32 v26, v26, v29
	v_add_f32_e32 v25, v25, v30
	v_sub_f32_e32 v31, v31, v30
	v_mov_b32_e32 v29, v27
	v_mov_b32_e32 v30, v28
	v_fmac_f32_e32 v29, 0x3f5db3d7, v32
	v_fmac_f32_e32 v30, 0xbf5db3d7, v31
	;; [unrolled: 1-line block ×4, first 2 shown]
	ds_write2_b64 v17, v[25:26], v[29:30] offset1:27
	ds_write_b64 v17, v[27:28] offset:432
	s_waitcnt lgkmcnt(0)
	s_barrier
	global_load_dwordx2 v[29:30], v20, s[8:9] offset:648
	global_load_dwordx2 v[31:32], v20, s[6:7] offset:432
	ds_read2_b64 v[25:28], v17 offset1:27
	s_waitcnt vmcnt(1) lgkmcnt(0)
	v_mul_f32_e32 v33, v26, v30
	v_mul_f32_e32 v34, v25, v30
	v_fma_f32 v33, v25, v29, -v33
	v_fmac_f32_e32 v34, v26, v29
	global_load_dwordx2 v[25:26], v20, s[6:7] offset:216
	s_waitcnt vmcnt(0)
	v_mul_f32_e32 v20, v28, v26
	v_mul_f32_e32 v30, v27, v26
	v_fma_f32 v29, v27, v25, -v20
	v_fmac_f32_e32 v30, v28, v25
	ds_read_b64 v[25:26], v17 offset:432
	s_waitcnt lgkmcnt(0)
	v_mul_f32_e32 v20, v26, v32
	v_mul_f32_e32 v28, v25, v32
	v_fma_f32 v27, v25, v31, -v20
	v_fmac_f32_e32 v28, v26, v31
	ds_write2_b64 v17, v[33:34], v[29:30] offset1:27
	ds_write_b64 v17, v[27:28] offset:432
	s_waitcnt lgkmcnt(0)
	s_barrier
	ds_read_b64 v[29:30], v17 offset:432
	ds_read2_b64 v[25:28], v17 offset1:27
	s_waitcnt lgkmcnt(0)
	s_barrier
	v_add_f32_e32 v20, v27, v29
	v_add_f32_e32 v32, v28, v30
	v_fma_f32 v31, -0.5, v20, v25
	v_fma_f32 v32, -0.5, v32, v26
	v_add_f32_e32 v20, v25, v27
	v_sub_f32_e32 v33, v28, v30
	v_add_f32_e32 v26, v26, v28
	v_sub_f32_e32 v34, v27, v29
	v_add_f32_e32 v25, v20, v29
	v_add_f32_e32 v26, v26, v30
	v_mov_b32_e32 v27, v31
	v_fmac_f32_e32 v31, 0x3f5db3d7, v33
	v_mov_b32_e32 v28, v32
	v_fmac_f32_e32 v32, 0xbf5db3d7, v34
	v_fmac_f32_e32 v27, 0xbf5db3d7, v33
	;; [unrolled: 1-line block ×3, first 2 shown]
	ds_write_b64 v35, v[31:32] offset:16
	ds_write2_b64 v35, v[25:26], v[27:28] offset1:1
	s_waitcnt lgkmcnt(0)
	s_barrier
	ds_read_b64 v[25:26], v17 offset:432
	s_waitcnt lgkmcnt(0)
	v_mul_f32_e32 v29, v24, v26
	v_mul_f32_e32 v20, v24, v25
	v_fmac_f32_e32 v29, v23, v25
	v_fma_f32 v30, v23, v26, -v20
	ds_read2_b64 v[23:26], v17 offset1:27
	s_waitcnt lgkmcnt(0)
	s_barrier
	v_mul_f32_e32 v31, v22, v26
	v_mul_f32_e32 v20, v22, v25
	v_fmac_f32_e32 v31, v21, v25
	v_fma_f32 v32, v21, v26, -v20
	v_mad_u64_u32 v[20:21], s[6:7], s2, v14, 0
	v_add_f32_e32 v33, v23, v31
	v_add_f32_e32 v34, v24, v32
	v_mad_u64_u32 v[21:22], s[2:3], s3, v14, v[21:22]
	v_add_f32_e32 v14, v31, v29
	v_add_f32_e32 v22, v32, v30
	v_fma_f32 v25, -0.5, v14, v23
	v_fma_f32 v26, -0.5, v22, v24
	v_mad_u64_u32 v[22:23], s[2:3], s0, v16, 0
	v_lshlrev_b64 v[20:21], 3, v[20:21]
	v_sub_f32_e32 v31, v31, v29
	v_mov_b32_e32 v14, v23
	v_mad_u64_u32 v[23:24], s[2:3], s1, v16, v[14:15]
	s_load_dwordx2 s[2:3], s[4:5], 0x38
	v_sub_f32_e32 v24, v32, v30
	v_lshlrev_b64 v[27:28], 3, v[22:23]
	v_mov_b32_e32 v22, v25
	v_mov_b32_e32 v23, v26
	s_waitcnt lgkmcnt(0)
	v_mov_b32_e32 v14, s3
	v_add_co_u32_e32 v16, vcc, s2, v20
	v_addc_co_u32_e32 v14, vcc, v14, v21, vcc
	v_add_f32_e32 v21, v34, v30
	v_add_f32_e32 v20, v33, v29
	v_fmac_f32_e32 v25, 0x3f5db3d7, v24
	v_fmac_f32_e32 v26, 0xbf5db3d7, v31
	;; [unrolled: 1-line block ×4, first 2 shown]
	ds_write_b64 v18, v[25:26] offset:48
	ds_write2_b64 v18, v[20:21], v[22:23] offset1:3
	s_waitcnt lgkmcnt(0)
	s_barrier
	ds_read_b64 v[24:25], v17 offset:432
	ds_read2_b64 v[20:23], v17 offset1:27
	s_waitcnt lgkmcnt(0)
	s_barrier
	v_mul_f32_e32 v18, v3, v25
	v_mul_f32_e32 v3, v3, v24
	;; [unrolled: 1-line block ×4, first 2 shown]
	v_fmac_f32_e32 v18, v2, v24
	v_fma_f32 v2, v2, v25, -v3
	v_fmac_f32_e32 v26, v0, v22
	v_fma_f32 v0, v0, v23, -v1
	v_add_f32_e32 v1, v0, v2
	v_add_f32_e32 v3, v26, v18
	;; [unrolled: 1-line block ×3, first 2 shown]
	v_sub_f32_e32 v24, v0, v2
	v_fma_f32 v0, -0.5, v3, v20
	v_fma_f32 v1, -0.5, v1, v21
	v_add_f32_e32 v22, v20, v26
	v_sub_f32_e32 v25, v26, v18
	v_mov_b32_e32 v20, v0
	v_mov_b32_e32 v21, v1
	v_add_f32_e32 v3, v23, v2
	v_add_f32_e32 v2, v22, v18
	v_fmac_f32_e32 v0, 0x3f5db3d7, v24
	v_fmac_f32_e32 v1, 0xbf5db3d7, v25
	;; [unrolled: 1-line block ×4, first 2 shown]
	ds_write_b64 v19, v[0:1] offset:144
	ds_write2_b64 v19, v[2:3], v[20:21] offset1:9
	s_waitcnt lgkmcnt(0)
	s_barrier
	ds_read_b64 v[18:19], v17 offset:432
	ds_read2_b64 v[0:3], v17 offset1:27
	v_add_co_u32_e32 v20, vcc, v16, v27
	v_addc_co_u32_e32 v21, vcc, v14, v28, vcc
	s_waitcnt lgkmcnt(1)
	v_mul_f32_e32 v14, v7, v19
	v_mul_f32_e32 v7, v7, v18
	s_waitcnt lgkmcnt(0)
	v_mul_f32_e32 v16, v5, v3
	v_mul_f32_e32 v5, v5, v2
	v_fmac_f32_e32 v14, v6, v18
	v_fma_f32 v6, v6, v19, -v7
	v_fmac_f32_e32 v16, v4, v2
	v_fma_f32 v2, v4, v3, -v5
	v_add_f32_e32 v3, v16, v14
	v_add_f32_e32 v4, v2, v6
	;; [unrolled: 1-line block ×4, first 2 shown]
	v_sub_f32_e32 v18, v2, v6
	v_sub_f32_e32 v16, v16, v14
	v_fma_f32 v0, -0.5, v3, v0
	v_fma_f32 v1, -0.5, v4, v1
	v_add_f32_e32 v2, v5, v14
	v_add_f32_e32 v3, v7, v6
	v_mov_b32_e32 v4, v0
	v_fmac_f32_e32 v0, 0x3f5db3d7, v18
	v_mov_b32_e32 v5, v1
	v_fmac_f32_e32 v1, 0xbf5db3d7, v16
	v_fmac_f32_e32 v4, 0xbf5db3d7, v18
	;; [unrolled: 1-line block ×3, first 2 shown]
	ds_write_b64 v17, v[0:1] offset:432
	ds_write2_b64 v17, v[2:3], v[4:5] offset1:27
	s_waitcnt lgkmcnt(0)
	s_barrier
	ds_read2_b64 v[0:3], v17 offset1:27
	ds_read_b64 v[4:5], v17 offset:432
	v_mad_u64_u32 v[22:23], s[2:3], s0, v15, v[20:21]
	s_mov_b32 s2, 0xfcd6e9e0
	s_waitcnt lgkmcnt(1)
	v_mul_f32_e32 v6, v9, v1
	v_mul_f32_e32 v7, v9, v0
	;; [unrolled: 1-line block ×4, first 2 shown]
	v_fmac_f32_e32 v6, v8, v0
	v_fma_f32 v7, v8, v1, -v7
	s_waitcnt lgkmcnt(0)
	v_mul_f32_e32 v14, v13, v5
	v_mul_f32_e32 v13, v13, v4
	v_fmac_f32_e32 v9, v10, v2
	v_fma_f32 v8, v10, v3, -v11
	v_cvt_f64_f32_e32 v[0:1], v6
	v_cvt_f64_f32_e32 v[2:3], v7
	v_fmac_f32_e32 v14, v12, v4
	v_fma_f32 v10, v12, v5, -v13
	v_cvt_f64_f32_e32 v[4:5], v9
	v_cvt_f64_f32_e32 v[6:7], v8
	;; [unrolled: 1-line block ×4, first 2 shown]
	s_mov_b32 s3, 0x3f8948b0
	v_mul_f64 v[0:1], v[0:1], s[2:3]
	v_mul_f64 v[2:3], v[2:3], s[2:3]
	;; [unrolled: 1-line block ×6, first 2 shown]
	s_mul_i32 s4, s1, 0xd8
	v_add_u32_e32 v23, s4, v23
	v_mad_u64_u32 v[12:13], s[0:1], s0, v15, v[22:23]
	v_cvt_f32_f64_e32 v0, v[0:1]
	v_cvt_f32_f64_e32 v1, v[2:3]
	;; [unrolled: 1-line block ×6, first 2 shown]
	v_add_u32_e32 v13, s4, v13
	global_store_dwordx2 v[20:21], v[0:1], off
	global_store_dwordx2 v[22:23], v[2:3], off
	;; [unrolled: 1-line block ×3, first 2 shown]
.LBB0_2:
	s_endpgm
	.section	.rodata,"a",@progbits
	.p2align	6, 0x0
	.amdhsa_kernel bluestein_single_back_len81_dim1_sp_op_CI_CI
		.amdhsa_group_segment_fixed_size 2592
		.amdhsa_private_segment_fixed_size 0
		.amdhsa_kernarg_size 104
		.amdhsa_user_sgpr_count 6
		.amdhsa_user_sgpr_private_segment_buffer 1
		.amdhsa_user_sgpr_dispatch_ptr 0
		.amdhsa_user_sgpr_queue_ptr 0
		.amdhsa_user_sgpr_kernarg_segment_ptr 1
		.amdhsa_user_sgpr_dispatch_id 0
		.amdhsa_user_sgpr_flat_scratch_init 0
		.amdhsa_user_sgpr_private_segment_size 0
		.amdhsa_uses_dynamic_stack 0
		.amdhsa_system_sgpr_private_segment_wavefront_offset 0
		.amdhsa_system_sgpr_workgroup_id_x 1
		.amdhsa_system_sgpr_workgroup_id_y 0
		.amdhsa_system_sgpr_workgroup_id_z 0
		.amdhsa_system_sgpr_workgroup_info 0
		.amdhsa_system_vgpr_workitem_id 0
		.amdhsa_next_free_vgpr 36
		.amdhsa_next_free_sgpr 20
		.amdhsa_reserve_vcc 1
		.amdhsa_reserve_flat_scratch 0
		.amdhsa_float_round_mode_32 0
		.amdhsa_float_round_mode_16_64 0
		.amdhsa_float_denorm_mode_32 3
		.amdhsa_float_denorm_mode_16_64 3
		.amdhsa_dx10_clamp 1
		.amdhsa_ieee_mode 1
		.amdhsa_fp16_overflow 0
		.amdhsa_exception_fp_ieee_invalid_op 0
		.amdhsa_exception_fp_denorm_src 0
		.amdhsa_exception_fp_ieee_div_zero 0
		.amdhsa_exception_fp_ieee_overflow 0
		.amdhsa_exception_fp_ieee_underflow 0
		.amdhsa_exception_fp_ieee_inexact 0
		.amdhsa_exception_int_div_zero 0
	.end_amdhsa_kernel
	.text
.Lfunc_end0:
	.size	bluestein_single_back_len81_dim1_sp_op_CI_CI, .Lfunc_end0-bluestein_single_back_len81_dim1_sp_op_CI_CI
                                        ; -- End function
	.section	.AMDGPU.csdata,"",@progbits
; Kernel info:
; codeLenInByte = 2388
; NumSgprs: 24
; NumVgprs: 36
; ScratchSize: 0
; MemoryBound: 0
; FloatMode: 240
; IeeeMode: 1
; LDSByteSize: 2592 bytes/workgroup (compile time only)
; SGPRBlocks: 2
; VGPRBlocks: 8
; NumSGPRsForWavesPerEU: 24
; NumVGPRsForWavesPerEU: 36
; Occupancy: 7
; WaveLimiterHint : 1
; COMPUTE_PGM_RSRC2:SCRATCH_EN: 0
; COMPUTE_PGM_RSRC2:USER_SGPR: 6
; COMPUTE_PGM_RSRC2:TRAP_HANDLER: 0
; COMPUTE_PGM_RSRC2:TGID_X_EN: 1
; COMPUTE_PGM_RSRC2:TGID_Y_EN: 0
; COMPUTE_PGM_RSRC2:TGID_Z_EN: 0
; COMPUTE_PGM_RSRC2:TIDIG_COMP_CNT: 0
	.type	__hip_cuid_eecaf4f31c414154,@object ; @__hip_cuid_eecaf4f31c414154
	.section	.bss,"aw",@nobits
	.globl	__hip_cuid_eecaf4f31c414154
__hip_cuid_eecaf4f31c414154:
	.byte	0                               ; 0x0
	.size	__hip_cuid_eecaf4f31c414154, 1

	.ident	"AMD clang version 19.0.0git (https://github.com/RadeonOpenCompute/llvm-project roc-6.4.0 25133 c7fe45cf4b819c5991fe208aaa96edf142730f1d)"
	.section	".note.GNU-stack","",@progbits
	.addrsig
	.addrsig_sym __hip_cuid_eecaf4f31c414154
	.amdgpu_metadata
---
amdhsa.kernels:
  - .args:
      - .actual_access:  read_only
        .address_space:  global
        .offset:         0
        .size:           8
        .value_kind:     global_buffer
      - .actual_access:  read_only
        .address_space:  global
        .offset:         8
        .size:           8
        .value_kind:     global_buffer
      - .actual_access:  read_only
        .address_space:  global
        .offset:         16
        .size:           8
        .value_kind:     global_buffer
      - .actual_access:  read_only
        .address_space:  global
        .offset:         24
        .size:           8
        .value_kind:     global_buffer
      - .actual_access:  read_only
        .address_space:  global
        .offset:         32
        .size:           8
        .value_kind:     global_buffer
      - .offset:         40
        .size:           8
        .value_kind:     by_value
      - .address_space:  global
        .offset:         48
        .size:           8
        .value_kind:     global_buffer
      - .address_space:  global
        .offset:         56
        .size:           8
        .value_kind:     global_buffer
      - .address_space:  global
        .offset:         64
        .size:           8
        .value_kind:     global_buffer
      - .address_space:  global
        .offset:         72
        .size:           8
        .value_kind:     global_buffer
      - .offset:         80
        .size:           4
        .value_kind:     by_value
      - .address_space:  global
        .offset:         88
        .size:           8
        .value_kind:     global_buffer
      - .address_space:  global
        .offset:         96
        .size:           8
        .value_kind:     global_buffer
    .group_segment_fixed_size: 2592
    .kernarg_segment_align: 8
    .kernarg_segment_size: 104
    .language:       OpenCL C
    .language_version:
      - 2
      - 0
    .max_flat_workgroup_size: 108
    .name:           bluestein_single_back_len81_dim1_sp_op_CI_CI
    .private_segment_fixed_size: 0
    .sgpr_count:     24
    .sgpr_spill_count: 0
    .symbol:         bluestein_single_back_len81_dim1_sp_op_CI_CI.kd
    .uniform_work_group_size: 1
    .uses_dynamic_stack: false
    .vgpr_count:     36
    .vgpr_spill_count: 0
    .wavefront_size: 64
amdhsa.target:   amdgcn-amd-amdhsa--gfx906
amdhsa.version:
  - 1
  - 2
...

	.end_amdgpu_metadata
